;; amdgpu-corpus repo=ROCm/rocFFT kind=compiled arch=gfx906 opt=O3
	.text
	.amdgcn_target "amdgcn-amd-amdhsa--gfx906"
	.amdhsa_code_object_version 6
	.protected	fft_rtc_fwd_len204_factors_17_4_3_wgs_119_tpt_17_halfLds_sp_ip_CI_sbrr_dirReg ; -- Begin function fft_rtc_fwd_len204_factors_17_4_3_wgs_119_tpt_17_halfLds_sp_ip_CI_sbrr_dirReg
	.globl	fft_rtc_fwd_len204_factors_17_4_3_wgs_119_tpt_17_halfLds_sp_ip_CI_sbrr_dirReg
	.p2align	8
	.type	fft_rtc_fwd_len204_factors_17_4_3_wgs_119_tpt_17_halfLds_sp_ip_CI_sbrr_dirReg,@function
fft_rtc_fwd_len204_factors_17_4_3_wgs_119_tpt_17_halfLds_sp_ip_CI_sbrr_dirReg: ; @fft_rtc_fwd_len204_factors_17_4_3_wgs_119_tpt_17_halfLds_sp_ip_CI_sbrr_dirReg
; %bb.0:
	s_load_dwordx2 s[2:3], s[4:5], 0x18
	s_load_dwordx4 s[8:11], s[4:5], 0x0
	s_load_dwordx2 s[14:15], s[4:5], 0x50
	v_mul_u32_u24_e32 v1, 0xf10, v0
	v_lshrrev_b32_e32 v1, 16, v1
	v_mad_u64_u32 v[36:37], s[0:1], s6, 7, v[1:2]
	s_waitcnt lgkmcnt(0)
	s_load_dwordx2 s[12:13], s[2:3], 0x0
	v_mov_b32_e32 v3, 0
	v_cmp_lt_u64_e64 s[0:1], s[10:11], 2
	v_mov_b32_e32 v37, v3
	v_mov_b32_e32 v1, 0
	;; [unrolled: 1-line block ×3, first 2 shown]
	s_and_b64 vcc, exec, s[0:1]
	v_mov_b32_e32 v2, 0
	v_mov_b32_e32 v8, v37
	s_cbranch_vccnz .LBB0_8
; %bb.1:
	s_load_dwordx2 s[0:1], s[4:5], 0x10
	s_add_u32 s6, s2, 8
	s_addc_u32 s7, s3, 0
	v_mov_b32_e32 v1, 0
	v_mov_b32_e32 v5, v36
	s_waitcnt lgkmcnt(0)
	s_add_u32 s18, s0, 8
	s_mov_b64 s[16:17], 1
	v_mov_b32_e32 v2, 0
	s_addc_u32 s19, s1, 0
	v_mov_b32_e32 v6, v37
.LBB0_2:                                ; =>This Inner Loop Header: Depth=1
	s_load_dwordx2 s[20:21], s[18:19], 0x0
                                        ; implicit-def: $vgpr7_vgpr8
	s_waitcnt lgkmcnt(0)
	v_or_b32_e32 v4, s21, v6
	v_cmp_ne_u64_e32 vcc, 0, v[3:4]
	s_and_saveexec_b64 s[0:1], vcc
	s_xor_b64 s[22:23], exec, s[0:1]
	s_cbranch_execz .LBB0_4
; %bb.3:                                ;   in Loop: Header=BB0_2 Depth=1
	v_cvt_f32_u32_e32 v4, s20
	v_cvt_f32_u32_e32 v7, s21
	s_sub_u32 s0, 0, s20
	s_subb_u32 s1, 0, s21
	v_mac_f32_e32 v4, 0x4f800000, v7
	v_rcp_f32_e32 v4, v4
	v_mul_f32_e32 v4, 0x5f7ffffc, v4
	v_mul_f32_e32 v7, 0x2f800000, v4
	v_trunc_f32_e32 v7, v7
	v_mac_f32_e32 v4, 0xcf800000, v7
	v_cvt_u32_f32_e32 v7, v7
	v_cvt_u32_f32_e32 v4, v4
	v_mul_lo_u32 v8, s0, v7
	v_mul_hi_u32 v9, s0, v4
	v_mul_lo_u32 v11, s1, v4
	v_mul_lo_u32 v10, s0, v4
	v_add_u32_e32 v8, v9, v8
	v_add_u32_e32 v8, v8, v11
	v_mul_hi_u32 v9, v4, v10
	v_mul_lo_u32 v11, v4, v8
	v_mul_hi_u32 v13, v4, v8
	v_mul_hi_u32 v12, v7, v10
	v_mul_lo_u32 v10, v7, v10
	v_mul_hi_u32 v14, v7, v8
	v_add_co_u32_e32 v9, vcc, v9, v11
	v_addc_co_u32_e32 v11, vcc, 0, v13, vcc
	v_mul_lo_u32 v8, v7, v8
	v_add_co_u32_e32 v9, vcc, v9, v10
	v_addc_co_u32_e32 v9, vcc, v11, v12, vcc
	v_addc_co_u32_e32 v10, vcc, 0, v14, vcc
	v_add_co_u32_e32 v8, vcc, v9, v8
	v_addc_co_u32_e32 v9, vcc, 0, v10, vcc
	v_add_co_u32_e32 v4, vcc, v4, v8
	v_addc_co_u32_e32 v7, vcc, v7, v9, vcc
	v_mul_lo_u32 v8, s0, v7
	v_mul_hi_u32 v9, s0, v4
	v_mul_lo_u32 v10, s1, v4
	v_mul_lo_u32 v11, s0, v4
	v_add_u32_e32 v8, v9, v8
	v_add_u32_e32 v8, v8, v10
	v_mul_lo_u32 v12, v4, v8
	v_mul_hi_u32 v13, v4, v11
	v_mul_hi_u32 v14, v4, v8
	;; [unrolled: 1-line block ×3, first 2 shown]
	v_mul_lo_u32 v11, v7, v11
	v_mul_hi_u32 v9, v7, v8
	v_add_co_u32_e32 v12, vcc, v13, v12
	v_addc_co_u32_e32 v13, vcc, 0, v14, vcc
	v_mul_lo_u32 v8, v7, v8
	v_add_co_u32_e32 v11, vcc, v12, v11
	v_addc_co_u32_e32 v10, vcc, v13, v10, vcc
	v_addc_co_u32_e32 v9, vcc, 0, v9, vcc
	v_add_co_u32_e32 v8, vcc, v10, v8
	v_addc_co_u32_e32 v9, vcc, 0, v9, vcc
	v_add_co_u32_e32 v4, vcc, v4, v8
	v_addc_co_u32_e32 v9, vcc, v7, v9, vcc
	v_mad_u64_u32 v[7:8], s[0:1], v5, v9, 0
	v_mul_hi_u32 v10, v5, v4
	v_add_co_u32_e32 v11, vcc, v10, v7
	v_addc_co_u32_e32 v12, vcc, 0, v8, vcc
	v_mad_u64_u32 v[7:8], s[0:1], v6, v4, 0
	v_mad_u64_u32 v[9:10], s[0:1], v6, v9, 0
	v_add_co_u32_e32 v4, vcc, v11, v7
	v_addc_co_u32_e32 v4, vcc, v12, v8, vcc
	v_addc_co_u32_e32 v7, vcc, 0, v10, vcc
	v_add_co_u32_e32 v4, vcc, v4, v9
	v_addc_co_u32_e32 v9, vcc, 0, v7, vcc
	v_mul_lo_u32 v10, s21, v4
	v_mul_lo_u32 v11, s20, v9
	v_mad_u64_u32 v[7:8], s[0:1], s20, v4, 0
	v_add3_u32 v8, v8, v11, v10
	v_sub_u32_e32 v10, v6, v8
	v_mov_b32_e32 v11, s21
	v_sub_co_u32_e32 v7, vcc, v5, v7
	v_subb_co_u32_e64 v10, s[0:1], v10, v11, vcc
	v_subrev_co_u32_e64 v11, s[0:1], s20, v7
	v_subbrev_co_u32_e64 v10, s[0:1], 0, v10, s[0:1]
	v_cmp_le_u32_e64 s[0:1], s21, v10
	v_cndmask_b32_e64 v12, 0, -1, s[0:1]
	v_cmp_le_u32_e64 s[0:1], s20, v11
	v_cndmask_b32_e64 v11, 0, -1, s[0:1]
	v_cmp_eq_u32_e64 s[0:1], s21, v10
	v_cndmask_b32_e64 v10, v12, v11, s[0:1]
	v_add_co_u32_e64 v11, s[0:1], 2, v4
	v_addc_co_u32_e64 v12, s[0:1], 0, v9, s[0:1]
	v_add_co_u32_e64 v13, s[0:1], 1, v4
	v_addc_co_u32_e64 v14, s[0:1], 0, v9, s[0:1]
	v_subb_co_u32_e32 v8, vcc, v6, v8, vcc
	v_cmp_ne_u32_e64 s[0:1], 0, v10
	v_cmp_le_u32_e32 vcc, s21, v8
	v_cndmask_b32_e64 v10, v14, v12, s[0:1]
	v_cndmask_b32_e64 v12, 0, -1, vcc
	v_cmp_le_u32_e32 vcc, s20, v7
	v_cndmask_b32_e64 v7, 0, -1, vcc
	v_cmp_eq_u32_e32 vcc, s21, v8
	v_cndmask_b32_e32 v7, v12, v7, vcc
	v_cmp_ne_u32_e32 vcc, 0, v7
	v_cndmask_b32_e64 v7, v13, v11, s[0:1]
	v_cndmask_b32_e32 v8, v9, v10, vcc
	v_cndmask_b32_e32 v7, v4, v7, vcc
.LBB0_4:                                ;   in Loop: Header=BB0_2 Depth=1
	s_andn2_saveexec_b64 s[0:1], s[22:23]
	s_cbranch_execz .LBB0_6
; %bb.5:                                ;   in Loop: Header=BB0_2 Depth=1
	v_cvt_f32_u32_e32 v4, s20
	s_sub_i32 s22, 0, s20
	v_rcp_iflag_f32_e32 v4, v4
	v_mul_f32_e32 v4, 0x4f7ffffe, v4
	v_cvt_u32_f32_e32 v4, v4
	v_mul_lo_u32 v7, s22, v4
	v_mul_hi_u32 v7, v4, v7
	v_add_u32_e32 v4, v4, v7
	v_mul_hi_u32 v4, v5, v4
	v_mul_lo_u32 v7, v4, s20
	v_add_u32_e32 v8, 1, v4
	v_sub_u32_e32 v7, v5, v7
	v_subrev_u32_e32 v9, s20, v7
	v_cmp_le_u32_e32 vcc, s20, v7
	v_cndmask_b32_e32 v7, v7, v9, vcc
	v_cndmask_b32_e32 v4, v4, v8, vcc
	v_add_u32_e32 v8, 1, v4
	v_cmp_le_u32_e32 vcc, s20, v7
	v_cndmask_b32_e32 v7, v4, v8, vcc
	v_mov_b32_e32 v8, v3
.LBB0_6:                                ;   in Loop: Header=BB0_2 Depth=1
	s_or_b64 exec, exec, s[0:1]
	v_mul_lo_u32 v4, v8, s20
	v_mul_lo_u32 v11, v7, s21
	v_mad_u64_u32 v[9:10], s[0:1], v7, s20, 0
	s_load_dwordx2 s[0:1], s[6:7], 0x0
	s_add_u32 s16, s16, 1
	v_add3_u32 v4, v10, v11, v4
	v_sub_co_u32_e32 v5, vcc, v5, v9
	v_subb_co_u32_e32 v4, vcc, v6, v4, vcc
	s_waitcnt lgkmcnt(0)
	v_mul_lo_u32 v4, s0, v4
	v_mul_lo_u32 v6, s1, v5
	v_mad_u64_u32 v[1:2], s[0:1], s0, v5, v[1:2]
	s_addc_u32 s17, s17, 0
	s_add_u32 s6, s6, 8
	v_add3_u32 v2, v6, v2, v4
	v_mov_b32_e32 v4, s10
	v_mov_b32_e32 v5, s11
	s_addc_u32 s7, s7, 0
	v_cmp_ge_u64_e32 vcc, s[16:17], v[4:5]
	s_add_u32 s18, s18, 8
	s_addc_u32 s19, s19, 0
	s_cbranch_vccnz .LBB0_8
; %bb.7:                                ;   in Loop: Header=BB0_2 Depth=1
	v_mov_b32_e32 v5, v7
	v_mov_b32_e32 v6, v8
	s_branch .LBB0_2
.LBB0_8:
	s_lshl_b64 s[0:1], s[10:11], 3
	s_add_u32 s0, s2, s0
	s_addc_u32 s1, s3, s1
	s_load_dwordx2 s[2:3], s[0:1], 0x0
	s_load_dwordx2 s[6:7], s[4:5], 0x20
	v_mov_b32_e32 v27, 0
	v_mov_b32_e32 v26, 0
                                        ; implicit-def: $vgpr33
                                        ; implicit-def: $vgpr29
                                        ; implicit-def: $vgpr23
                                        ; implicit-def: $vgpr19
                                        ; implicit-def: $vgpr15
                                        ; implicit-def: $vgpr11
                                        ; implicit-def: $vgpr9
                                        ; implicit-def: $vgpr35
                                        ; implicit-def: $vgpr31
                                        ; implicit-def: $vgpr25
                                        ; implicit-def: $vgpr21
                                        ; implicit-def: $vgpr17
                                        ; implicit-def: $vgpr13
	s_waitcnt lgkmcnt(0)
	v_mad_u64_u32 v[1:2], s[0:1], s2, v7, v[1:2]
	s_mov_b32 s0, 0xf0f0f10
	v_mul_lo_u32 v3, s2, v8
	v_mul_lo_u32 v4, s3, v7
	v_mul_hi_u32 v5, v0, s0
	v_cmp_gt_u64_e32 vcc, s[6:7], v[7:8]
                                        ; implicit-def: $vgpr7
	v_add3_u32 v2, v4, v2, v3
	v_mul_u32_u24_e32 v3, 17, v5
	v_sub_u32_e32 v46, v0, v3
	v_cmp_gt_u32_e64 s[0:1], 12, v46
	v_lshlrev_b64 v[0:1], 3, v[1:2]
	s_and_b64 s[2:3], vcc, s[0:1]
                                        ; implicit-def: $vgpr3
                                        ; implicit-def: $vgpr5
	s_and_saveexec_b64 s[4:5], s[2:3]
	s_cbranch_execz .LBB0_10
; %bb.9:
	v_mad_u64_u32 v[2:3], s[2:3], s12, v46, 0
	v_add_u32_e32 v7, 12, v46
	v_mov_b32_e32 v6, s15
	v_mad_u64_u32 v[3:4], s[2:3], s13, v46, v[3:4]
	v_mad_u64_u32 v[4:5], s[2:3], s12, v7, 0
	v_add_co_u32_e64 v10, s[2:3], s14, v0
	v_addc_co_u32_e64 v11, s[2:3], v6, v1, s[2:3]
	v_mad_u64_u32 v[5:6], s[2:3], s13, v7, v[5:6]
	v_add_u32_e32 v8, 24, v46
	v_mad_u64_u32 v[6:7], s[2:3], s12, v8, 0
	v_lshlrev_b64 v[2:3], 3, v[2:3]
	v_add_co_u32_e64 v30, s[2:3], v10, v2
	v_addc_co_u32_e64 v31, s[2:3], v11, v3, s[2:3]
	v_lshlrev_b64 v[2:3], 3, v[4:5]
	v_mov_b32_e32 v4, v7
	v_mad_u64_u32 v[4:5], s[2:3], s13, v8, v[4:5]
	v_add_u32_e32 v5, 36, v46
	v_mad_u64_u32 v[8:9], s[2:3], s12, v5, 0
	v_add_co_u32_e64 v34, s[2:3], v10, v2
	v_mov_b32_e32 v7, v4
	v_mov_b32_e32 v4, v9
	v_addc_co_u32_e64 v35, s[2:3], v11, v3, s[2:3]
	v_lshlrev_b64 v[2:3], 3, v[6:7]
	v_mad_u64_u32 v[4:5], s[2:3], s13, v5, v[4:5]
	v_or_b32_e32 v7, 48, v46
	v_mad_u64_u32 v[5:6], s[2:3], s12, v7, 0
	v_add_co_u32_e64 v37, s[2:3], v10, v2
	v_mov_b32_e32 v9, v4
	v_mov_b32_e32 v4, v6
	v_addc_co_u32_e64 v38, s[2:3], v11, v3, s[2:3]
	v_lshlrev_b64 v[2:3], 3, v[8:9]
	v_mad_u64_u32 v[6:7], s[2:3], s13, v7, v[4:5]
	v_add_u32_e32 v9, 60, v46
	v_mad_u64_u32 v[7:8], s[2:3], s12, v9, 0
	v_add_co_u32_e64 v39, s[2:3], v10, v2
	v_mov_b32_e32 v4, v8
	v_addc_co_u32_e64 v40, s[2:3], v11, v3, s[2:3]
	v_lshlrev_b64 v[2:3], 3, v[5:6]
	v_mad_u64_u32 v[4:5], s[2:3], s13, v9, v[4:5]
	v_add_u32_e32 v9, 0x48, v46
	v_mad_u64_u32 v[5:6], s[2:3], s12, v9, 0
	v_add_co_u32_e64 v41, s[2:3], v10, v2
	v_mov_b32_e32 v8, v4
	v_mov_b32_e32 v4, v6
	v_addc_co_u32_e64 v42, s[2:3], v11, v3, s[2:3]
	v_lshlrev_b64 v[2:3], 3, v[7:8]
	v_mad_u64_u32 v[6:7], s[2:3], s13, v9, v[4:5]
	v_add_u32_e32 v9, 0x54, v46
	v_mad_u64_u32 v[7:8], s[2:3], s12, v9, 0
	v_add_co_u32_e64 v43, s[2:3], v10, v2
	v_mov_b32_e32 v4, v8
	v_addc_co_u32_e64 v44, s[2:3], v11, v3, s[2:3]
	v_lshlrev_b64 v[2:3], 3, v[5:6]
	v_mad_u64_u32 v[4:5], s[2:3], s13, v9, v[4:5]
	v_or_b32_e32 v9, 0x60, v46
	v_mad_u64_u32 v[5:6], s[2:3], s12, v9, 0
	v_add_co_u32_e64 v47, s[2:3], v10, v2
	v_mov_b32_e32 v8, v4
	v_mov_b32_e32 v4, v6
	v_addc_co_u32_e64 v48, s[2:3], v11, v3, s[2:3]
	v_lshlrev_b64 v[2:3], 3, v[7:8]
	v_mad_u64_u32 v[6:7], s[2:3], s13, v9, v[4:5]
	v_add_u32_e32 v9, 0x6c, v46
	v_mad_u64_u32 v[7:8], s[2:3], s12, v9, 0
	v_add_co_u32_e64 v49, s[2:3], v10, v2
	v_mov_b32_e32 v4, v8
	v_addc_co_u32_e64 v50, s[2:3], v11, v3, s[2:3]
	v_lshlrev_b64 v[2:3], 3, v[5:6]
	v_mad_u64_u32 v[4:5], s[2:3], s13, v9, v[4:5]
	v_add_u32_e32 v9, 0x78, v46
	v_mad_u64_u32 v[5:6], s[2:3], s12, v9, 0
	v_add_co_u32_e64 v51, s[2:3], v10, v2
	v_mov_b32_e32 v8, v4
	v_mov_b32_e32 v4, v6
	v_addc_co_u32_e64 v52, s[2:3], v11, v3, s[2:3]
	v_lshlrev_b64 v[2:3], 3, v[7:8]
	v_mad_u64_u32 v[6:7], s[2:3], s13, v9, v[4:5]
	v_add_u32_e32 v9, 0x84, v46
	v_mad_u64_u32 v[7:8], s[2:3], s12, v9, 0
	v_add_co_u32_e64 v53, s[2:3], v10, v2
	;; [unrolled: 30-line block ×3, first 2 shown]
	v_mov_b32_e32 v4, v8
	v_addc_co_u32_e64 v62, s[2:3], v11, v3, s[2:3]
	v_lshlrev_b64 v[2:3], 3, v[5:6]
	v_mad_u64_u32 v[4:5], s[2:3], s13, v9, v[4:5]
	v_or_b32_e32 v9, 0xc0, v46
	v_mad_u64_u32 v[5:6], s[2:3], s12, v9, 0
	v_add_co_u32_e64 v63, s[2:3], v10, v2
	v_mov_b32_e32 v8, v4
	v_mov_b32_e32 v4, v6
	v_addc_co_u32_e64 v64, s[2:3], v11, v3, s[2:3]
	v_lshlrev_b64 v[2:3], 3, v[7:8]
	v_mad_u64_u32 v[6:7], s[2:3], s13, v9, v[4:5]
	v_add_co_u32_e64 v65, s[2:3], v10, v2
	v_addc_co_u32_e64 v66, s[2:3], v11, v3, s[2:3]
	v_lshlrev_b64 v[2:3], 3, v[5:6]
	v_add_co_u32_e64 v67, s[2:3], v10, v2
	v_addc_co_u32_e64 v68, s[2:3], v11, v3, s[2:3]
	global_load_dwordx2 v[26:27], v[30:31], off
	global_load_dwordx2 v[32:33], v[34:35], off
	;; [unrolled: 1-line block ×15, first 2 shown]
                                        ; kill: killed $vgpr57 killed $vgpr58
                                        ; kill: killed $vgpr47 killed $vgpr48
                                        ; kill: killed $vgpr34 killed $vgpr35
                                        ; kill: killed $vgpr61 killed $vgpr62
                                        ; kill: killed $vgpr51 killed $vgpr52
                                        ; kill: killed $vgpr39 killed $vgpr40
                                        ; kill: killed $vgpr55 killed $vgpr56
                                        ; kill: killed $vgpr43 killed $vgpr44
                                        ; kill: killed $vgpr30 killed $vgpr31
                                        ; kill: killed $vgpr59 killed $vgpr60
                                        ; kill: killed $vgpr49 killed $vgpr50
                                        ; kill: killed $vgpr37 killed $vgpr38
                                        ; kill: killed $vgpr63 killed $vgpr64
                                        ; kill: killed $vgpr53 killed $vgpr54
                                        ; kill: killed $vgpr41 killed $vgpr42
	global_load_dwordx2 v[30:31], v[65:66], off
	global_load_dwordx2 v[34:35], v[67:68], off
.LBB0_10:
	s_or_b64 exec, exec, s[4:5]
	s_mov_b32 s2, 0x24924925
	v_mul_hi_u32 v37, v36, s2
	v_sub_u32_e32 v38, v36, v37
	v_lshrrev_b32_e32 v38, 1, v38
	v_add_u32_e32 v37, v38, v37
	v_lshrrev_b32_e32 v37, 2, v37
	v_mul_lo_u32 v37, v37, 7
	v_sub_u32_e32 v36, v36, v37
	v_mul_u32_u24_e32 v36, 0xcc, v36
	v_lshlrev_b32_e32 v47, 2, v36
	s_and_saveexec_b64 s[2:3], s[0:1]
	s_cbranch_execz .LBB0_12
; %bb.11:
	s_waitcnt vmcnt(0)
	v_sub_f32_e32 v41, v33, v35
	v_add_f32_e32 v36, v32, v34
	v_sub_f32_e32 v42, v29, v31
	s_mov_b32 s4, 0x3f6eb680
	v_mul_f32_e32 v53, 0xbeb8f4ab, v41
	v_add_f32_e32 v37, v28, v30
	v_sub_f32_e32 v43, v23, v25
	s_mov_b32 s5, 0x3f3d2fb0
	v_mul_f32_e32 v54, 0xbf2c7751, v42
	v_fma_f32 v48, v36, s4, -v53
	v_add_f32_e32 v38, v22, v24
	v_sub_f32_e32 v44, v19, v21
	s_mov_b32 s6, 0x3ee437d1
	v_mul_f32_e32 v55, 0xbf65296c, v43
	v_add_f32_e32 v48, v26, v48
	v_fma_f32 v49, v37, s5, -v54
	v_add_f32_e32 v39, v18, v20
	v_sub_f32_e32 v45, v15, v17
	s_mov_b32 s11, 0x3dbcf732
	v_mul_f32_e32 v56, 0xbf7ee86f, v44
	v_add_f32_e32 v48, v48, v49
	v_fma_f32 v49, v38, s6, -v55
	v_add_f32_e32 v40, v14, v16
	s_mov_b32 s10, 0xbe8c1d8e
	v_mul_f32_e32 v57, 0xbf763a35, v45
	v_add_f32_e32 v48, v48, v49
	v_fma_f32 v49, v39, s11, -v56
	v_sub_f32_e32 v59, v11, v13
	s_mov_b32 s7, 0xbf1a4643
	v_add_f32_e32 v48, v48, v49
	v_fma_f32 v49, v40, s10, -v57
	v_add_f32_e32 v58, v10, v12
	v_mul_f32_e32 v60, 0xbf4c4adb, v59
	v_sub_f32_e32 v62, v7, v9
	v_add_f32_e32 v48, v48, v49
	v_fma_f32 v49, v58, s7, -v60
	s_mov_b32 s16, 0xbf59a7d5
	v_add_f32_e32 v61, v6, v8
	v_mul_f32_e32 v63, 0xbf06c442, v62
	v_sub_f32_e32 v65, v3, v5
	v_add_f32_e32 v48, v48, v49
	v_fma_f32 v49, v61, s16, -v63
	s_mov_b32 s17, 0xbf7ba420
	v_add_f32_e32 v64, v2, v4
	v_mul_f32_e32 v66, 0xbe3c28d5, v65
	v_add_f32_e32 v48, v49, v48
	v_fma_f32 v49, v64, s17, -v66
	v_add_f32_e32 v49, v49, v48
	v_add_f32_e32 v48, v26, v32
	;; [unrolled: 1-line block ×17, first 2 shown]
	v_mul_u32_u24_e32 v48, 0x44, v46
	v_add3_u32 v48, 0, v48, v47
	ds_write2_b32 v48, v50, v49 offset1:1
	v_mul_f32_e32 v49, 0xbe3c28d5, v41
	v_mov_b32_e32 v50, v49
	v_mul_f32_e32 v51, 0x3eb8f4ab, v42
	v_fmac_f32_e32 v50, 0xbf7ba420, v36
	v_mov_b32_e32 v52, v51
	v_add_f32_e32 v50, v26, v50
	v_fmac_f32_e32 v52, 0x3f6eb680, v37
	v_mul_f32_e32 v67, 0xbf06c442, v43
	v_add_f32_e32 v50, v50, v52
	v_mov_b32_e32 v52, v67
	v_fmac_f32_e32 v52, 0xbf59a7d5, v38
	v_mul_f32_e32 v68, 0x3f2c7751, v44
	v_add_f32_e32 v50, v50, v52
	v_mov_b32_e32 v52, v68
	;; [unrolled: 4-line block ×6, first 2 shown]
	v_fmac_f32_e32 v52, 0x3dbcf732, v64
	v_fma_f32 v49, v36, s17, -v49
	v_add_f32_e32 v52, v52, v50
	v_add_f32_e32 v49, v26, v49
	v_fma_f32 v50, v37, s4, -v51
	v_add_f32_e32 v49, v49, v50
	v_fma_f32 v50, v38, s16, -v67
	;; [unrolled: 2-line block ×7, first 2 shown]
	v_add_f32_e32 v67, v50, v49
	v_mul_f32_e32 v50, 0xbf06c442, v41
	v_mov_b32_e32 v49, v50
	v_mul_f32_e32 v51, 0x3f65296c, v42
	v_fmac_f32_e32 v49, 0xbf59a7d5, v36
	v_mov_b32_e32 v68, v51
	v_add_f32_e32 v49, v26, v49
	v_fmac_f32_e32 v68, 0x3ee437d1, v37
	v_add_f32_e32 v49, v49, v68
	v_mul_f32_e32 v68, 0xbf7ee86f, v43
	v_mov_b32_e32 v69, v68
	v_fmac_f32_e32 v69, 0x3dbcf732, v38
	v_add_f32_e32 v49, v49, v69
	v_mul_f32_e32 v69, 0x3f4c4adb, v44
	v_mov_b32_e32 v70, v69
	v_fmac_f32_e32 v70, 0xbf1a4643, v39
	v_add_f32_e32 v49, v49, v70
	v_mul_f32_e32 v70, 0xbeb8f4ab, v45
	v_mov_b32_e32 v71, v70
	v_fmac_f32_e32 v71, 0x3f6eb680, v40
	v_add_f32_e32 v49, v49, v71
	v_mul_f32_e32 v71, 0xbe3c28d5, v59
	v_fma_f32 v50, v36, s16, -v50
	v_mov_b32_e32 v72, v71
	v_add_f32_e32 v50, v26, v50
	v_fma_f32 v51, v37, s6, -v51
	v_fmac_f32_e32 v72, 0xbf7ba420, v58
	v_add_f32_e32 v50, v50, v51
	v_fma_f32 v51, v38, s11, -v68
	v_add_f32_e32 v49, v49, v72
	v_mul_f32_e32 v72, 0x3f2c7751, v62
	v_add_f32_e32 v50, v50, v51
	v_fma_f32 v51, v39, s7, -v69
	v_mov_b32_e32 v73, v72
	v_add_f32_e32 v50, v50, v51
	v_fma_f32 v51, v40, s4, -v70
	v_fmac_f32_e32 v73, 0x3f3d2fb0, v61
	v_add_f32_e32 v50, v50, v51
	v_fma_f32 v51, v58, s17, -v71
	v_add_f32_e32 v49, v73, v49
	v_mul_f32_e32 v73, 0xbf763a35, v65
	v_add_f32_e32 v50, v50, v51
	v_fma_f32 v51, v61, s5, -v72
	v_add_f32_e32 v50, v51, v50
	v_fma_f32 v51, v64, s10, -v73
	v_add_f32_e32 v68, v51, v50
	v_mul_f32_e32 v51, 0xbf4c4adb, v41
	v_mov_b32_e32 v50, v51
	v_mul_f32_e32 v69, 0x3f763a35, v42
	v_fmac_f32_e32 v50, 0xbf1a4643, v36
	v_mov_b32_e32 v70, v69
	v_add_f32_e32 v50, v26, v50
	v_fmac_f32_e32 v70, 0xbe8c1d8e, v37
	v_add_f32_e32 v50, v50, v70
	v_mul_f32_e32 v70, 0xbeb8f4ab, v43
	v_mov_b32_e32 v71, v70
	v_fmac_f32_e32 v71, 0x3f6eb680, v38
	v_add_f32_e32 v50, v50, v71
	v_mul_f32_e32 v71, 0xbf06c442, v44
	v_mov_b32_e32 v72, v71
	;; [unrolled: 4-line block ×3, first 2 shown]
	v_mov_b32_e32 v73, v72
	v_fmac_f32_e32 v73, 0x3dbcf732, v40
	v_fmac_f32_e32 v74, 0xbe8c1d8e, v64
	v_add_f32_e32 v50, v50, v73
	v_mul_f32_e32 v73, 0xbf2c7751, v59
	v_fma_f32 v51, v36, s7, -v51
	v_add_f32_e32 v49, v74, v49
	v_mov_b32_e32 v74, v73
	v_add_f32_e32 v51, v26, v51
	v_fma_f32 v69, v37, s10, -v69
	v_fmac_f32_e32 v74, 0x3f3d2fb0, v58
	v_add_f32_e32 v51, v51, v69
	v_fma_f32 v69, v38, s4, -v70
	v_add_f32_e32 v50, v50, v74
	v_mul_f32_e32 v74, 0xbe3c28d5, v62
	v_add_f32_e32 v51, v51, v69
	v_fma_f32 v69, v39, s16, -v71
	v_mov_b32_e32 v75, v74
	v_add_f32_e32 v51, v51, v69
	v_fma_f32 v69, v40, s11, -v72
	v_fmac_f32_e32 v75, 0xbf7ba420, v61
	v_add_f32_e32 v51, v51, v69
	v_fma_f32 v69, v58, s5, -v73
	v_add_f32_e32 v50, v75, v50
	v_mul_f32_e32 v75, 0x3f65296c, v65
	v_add_f32_e32 v51, v51, v69
	v_fma_f32 v69, v61, s17, -v74
	v_add_f32_e32 v51, v69, v51
	v_fma_f32 v69, v64, s6, -v75
	v_mul_f32_e32 v70, 0xbf763a35, v41
	v_add_f32_e32 v69, v69, v51
	v_mov_b32_e32 v51, v70
	v_mul_f32_e32 v71, 0x3f06c442, v42
	v_fmac_f32_e32 v51, 0xbe8c1d8e, v36
	v_mov_b32_e32 v72, v71
	v_add_f32_e32 v51, v26, v51
	v_fmac_f32_e32 v72, 0xbf59a7d5, v37
	v_add_f32_e32 v51, v51, v72
	v_mul_f32_e32 v72, 0x3f2c7751, v43
	v_mov_b32_e32 v73, v72
	v_fmac_f32_e32 v73, 0x3f3d2fb0, v38
	v_add_f32_e32 v51, v51, v73
	v_mul_f32_e32 v73, 0xbf65296c, v44
	v_mov_b32_e32 v74, v73
	;; [unrolled: 4-line block ×3, first 2 shown]
	v_mov_b32_e32 v75, v74
	v_fmac_f32_e32 v75, 0xbf7ba420, v40
	v_fmac_f32_e32 v76, 0x3ee437d1, v64
	v_add_f32_e32 v51, v51, v75
	v_mul_f32_e32 v75, 0x3f7ee86f, v59
	v_fma_f32 v70, v36, s10, -v70
	v_add_f32_e32 v50, v76, v50
	v_mov_b32_e32 v76, v75
	v_add_f32_e32 v70, v26, v70
	v_fma_f32 v71, v37, s16, -v71
	v_fmac_f32_e32 v76, 0x3dbcf732, v58
	v_add_f32_e32 v70, v70, v71
	v_fma_f32 v71, v38, s5, -v72
	v_add_f32_e32 v51, v51, v76
	v_mul_f32_e32 v76, 0xbeb8f4ab, v62
	v_add_f32_e32 v70, v70, v71
	v_fma_f32 v71, v39, s6, -v73
	v_mov_b32_e32 v77, v76
	v_add_f32_e32 v70, v70, v71
	v_fma_f32 v71, v40, s17, -v74
	v_fmac_f32_e32 v77, 0x3f6eb680, v61
	v_add_f32_e32 v70, v70, v71
	v_fma_f32 v71, v58, s11, -v75
	v_add_f32_e32 v51, v77, v51
	v_mul_f32_e32 v77, 0xbf4c4adb, v65
	v_add_f32_e32 v70, v70, v71
	v_fma_f32 v71, v61, s4, -v76
	v_add_f32_e32 v70, v71, v70
	v_fma_f32 v71, v64, s7, -v77
	v_add_f32_e32 v70, v71, v70
	v_mul_f32_e32 v71, 0xbf7ee86f, v41
	v_mov_b32_e32 v72, v71
	v_mul_f32_e32 v73, 0xbe3c28d5, v42
	v_fmac_f32_e32 v72, 0x3dbcf732, v36
	v_mov_b32_e32 v74, v73
	v_add_f32_e32 v72, v26, v72
	v_fmac_f32_e32 v74, 0xbf7ba420, v37
	v_add_f32_e32 v72, v72, v74
	v_mul_f32_e32 v74, 0x3f763a35, v43
	v_mov_b32_e32 v75, v74
	v_fmac_f32_e32 v75, 0xbe8c1d8e, v38
	v_add_f32_e32 v72, v72, v75
	v_mul_f32_e32 v75, 0x3eb8f4ab, v44
	v_mov_b32_e32 v76, v75
	v_fmac_f32_e32 v76, 0x3f6eb680, v39
	v_add_f32_e32 v72, v72, v76
	v_mul_f32_e32 v76, 0xbf65296c, v45
	v_mov_b32_e32 v78, v77
	v_mov_b32_e32 v77, v76
	v_fmac_f32_e32 v77, 0x3ee437d1, v40
	v_fmac_f32_e32 v78, 0xbf1a4643, v64
	v_add_f32_e32 v72, v72, v77
	v_mul_f32_e32 v77, 0xbf06c442, v59
	v_fma_f32 v71, v36, s11, -v71
	v_add_f32_e32 v51, v78, v51
	v_mov_b32_e32 v78, v77
	v_add_f32_e32 v71, v26, v71
	v_fma_f32 v73, v37, s17, -v73
	v_fmac_f32_e32 v78, 0xbf59a7d5, v58
	v_add_f32_e32 v71, v71, v73
	v_fma_f32 v73, v38, s10, -v74
	v_add_f32_e32 v72, v72, v78
	v_mul_f32_e32 v78, 0x3f4c4adb, v62
	v_add_f32_e32 v71, v71, v73
	v_fma_f32 v73, v39, s4, -v75
	v_mov_b32_e32 v79, v78
	v_add_f32_e32 v71, v71, v73
	v_fma_f32 v73, v40, s6, -v76
	v_fmac_f32_e32 v79, 0xbf1a4643, v61
	v_add_f32_e32 v71, v71, v73
	v_fma_f32 v73, v58, s16, -v77
	v_add_f32_e32 v72, v79, v72
	v_mul_f32_e32 v79, 0x3f2c7751, v65
	v_add_f32_e32 v71, v71, v73
	v_fma_f32 v73, v61, s7, -v78
	v_add_f32_e32 v71, v73, v71
	v_fma_f32 v73, v64, s5, -v79
	v_add_f32_e32 v71, v73, v71
	v_mul_f32_e32 v73, 0xbf65296c, v41
	v_mov_b32_e32 v74, v73
	v_mul_f32_e32 v75, 0xbf4c4adb, v42
	v_fmac_f32_e32 v74, 0x3ee437d1, v36
	v_mov_b32_e32 v76, v75
	v_add_f32_e32 v74, v26, v74
	v_fmac_f32_e32 v76, 0xbf1a4643, v37
	v_add_f32_e32 v74, v74, v76
	v_mul_f32_e32 v76, 0x3e3c28d5, v43
	v_mov_b32_e32 v77, v76
	v_fmac_f32_e32 v77, 0xbf7ba420, v38
	v_add_f32_e32 v74, v74, v77
	v_mul_f32_e32 v77, 0x3f763a35, v44
	v_mov_b32_e32 v78, v77
	;; [unrolled: 4-line block ×3, first 2 shown]
	v_mov_b32_e32 v79, v78
	v_fmac_f32_e32 v79, 0x3f3d2fb0, v40
	v_fmac_f32_e32 v80, 0x3f3d2fb0, v64
	v_add_f32_e32 v74, v74, v79
	v_mul_f32_e32 v79, 0xbeb8f4ab, v59
	v_fma_f32 v73, v36, s6, -v73
	v_add_f32_e32 v72, v80, v72
	v_mov_b32_e32 v80, v79
	v_add_f32_e32 v73, v26, v73
	v_fma_f32 v75, v37, s7, -v75
	v_fmac_f32_e32 v80, 0x3f6eb680, v58
	v_add_f32_e32 v73, v73, v75
	v_fma_f32 v75, v38, s17, -v76
	v_add_f32_e32 v74, v74, v80
	v_mul_f32_e32 v80, 0xbf7ee86f, v62
	v_add_f32_e32 v73, v73, v75
	v_fma_f32 v75, v39, s10, -v77
	v_mov_b32_e32 v81, v80
	v_add_f32_e32 v73, v73, v75
	v_fma_f32 v75, v40, s5, -v78
	v_fmac_f32_e32 v81, 0x3dbcf732, v61
	v_add_f32_e32 v73, v73, v75
	v_fma_f32 v75, v58, s4, -v79
	v_add_f32_e32 v74, v81, v74
	v_mul_f32_e32 v81, 0xbf06c442, v65
	v_add_f32_e32 v73, v73, v75
	v_fma_f32 v75, v61, s11, -v80
	v_add_f32_e32 v73, v75, v73
	v_fma_f32 v75, v64, s16, -v81
	v_mul_f32_e32 v41, 0xbf2c7751, v41
	v_add_f32_e32 v73, v75, v73
	v_mov_b32_e32 v75, v41
	v_mul_f32_e32 v42, 0xbf7ee86f, v42
	v_fmac_f32_e32 v75, 0x3f3d2fb0, v36
	v_mov_b32_e32 v76, v42
	v_add_f32_e32 v75, v26, v75
	v_fmac_f32_e32 v76, 0x3dbcf732, v37
	v_mul_f32_e32 v43, 0xbf4c4adb, v43
	v_add_f32_e32 v75, v75, v76
	v_mov_b32_e32 v76, v43
	v_fmac_f32_e32 v76, 0xbf1a4643, v38
	v_mul_f32_e32 v44, 0xbe3c28d5, v44
	v_add_f32_e32 v75, v75, v76
	v_mov_b32_e32 v76, v44
	v_fmac_f32_e32 v76, 0xbf7ba420, v39
	v_mul_f32_e32 v45, 0x3f06c442, v45
	v_fma_f32 v41, v36, s5, -v41
	v_add_f32_e32 v75, v75, v76
	v_mov_b32_e32 v76, v45
	v_add_f32_e32 v41, v26, v41
	v_fma_f32 v42, v37, s11, -v42
	v_fmac_f32_e32 v53, 0x3f6eb680, v36
	v_fmac_f32_e32 v76, 0xbf59a7d5, v40
	v_mul_f32_e32 v59, 0x3f763a35, v59
	v_add_f32_e32 v41, v41, v42
	v_fma_f32 v42, v38, s7, -v43
	v_fmac_f32_e32 v54, 0x3f3d2fb0, v37
	v_add_f32_e32 v26, v26, v53
	v_add_f32_e32 v75, v75, v76
	v_mov_b32_e32 v76, v59
	v_add_f32_e32 v41, v41, v42
	v_fma_f32 v42, v39, s17, -v44
	v_add_f32_e32 v26, v26, v54
	v_fmac_f32_e32 v55, 0x3ee437d1, v38
	v_fmac_f32_e32 v76, 0xbe8c1d8e, v58
	v_mul_f32_e32 v62, 0x3f65296c, v62
	v_add_f32_e32 v41, v41, v42
	v_fma_f32 v42, v40, s16, -v45
	v_add_f32_e32 v26, v26, v55
	v_fmac_f32_e32 v56, 0x3dbcf732, v39
	v_add_f32_e32 v75, v75, v76
	v_mov_b32_e32 v76, v62
	v_add_f32_e32 v41, v41, v42
	v_fma_f32 v42, v58, s10, -v59
	v_add_f32_e32 v26, v26, v56
	v_fmac_f32_e32 v57, 0xbe8c1d8e, v40
	v_fmac_f32_e32 v76, 0x3ee437d1, v61
	v_mul_f32_e32 v65, 0x3eb8f4ab, v65
	v_add_f32_e32 v41, v41, v42
	v_fma_f32 v42, v61, s6, -v62
	v_add_f32_e32 v26, v26, v57
	v_fmac_f32_e32 v60, 0xbf1a4643, v58
	v_mov_b32_e32 v82, v81
	v_add_f32_e32 v75, v76, v75
	v_mov_b32_e32 v76, v65
	v_add_f32_e32 v41, v42, v41
	v_fma_f32 v42, v64, s4, -v65
	v_add_f32_e32 v26, v26, v60
	v_fmac_f32_e32 v63, 0xbf59a7d5, v61
	v_fmac_f32_e32 v82, 0xbf59a7d5, v64
	;; [unrolled: 1-line block ×3, first 2 shown]
	v_add_f32_e32 v41, v42, v41
	v_add_f32_e32 v26, v63, v26
	v_fmac_f32_e32 v66, 0xbf7ba420, v64
	v_add_f32_e32 v74, v82, v74
	v_add_f32_e32 v75, v76, v75
	;; [unrolled: 1-line block ×3, first 2 shown]
	ds_write2_b32 v48, v41, v73 offset0:2 offset1:3
	ds_write2_b32 v48, v71, v70 offset0:4 offset1:5
	;; [unrolled: 1-line block ×7, first 2 shown]
	ds_write_b32 v48, v26 offset:64
.LBB0_12:
	s_or_b64 exec, exec, s[2:3]
	v_lshlrev_b32_e32 v36, 2, v46
	v_add_u32_e32 v51, 0, v36
	v_add_u32_e32 v48, v51, v47
	s_waitcnt vmcnt(0) lgkmcnt(0)
	s_barrier
	v_add3_u32 v26, 0, v47, v36
	ds_read2_b32 v[44:45], v48 offset0:51 offset1:68
	ds_read2_b32 v[38:39], v48 offset0:85 offset1:102
	;; [unrolled: 1-line block ×5, first 2 shown]
	ds_read_b32 v50, v26
	ds_read_b32 v49, v48 offset:748
	s_waitcnt lgkmcnt(0)
	s_barrier
	s_and_saveexec_b64 s[2:3], s[0:1]
	s_cbranch_execz .LBB0_14
; %bb.13:
	v_add_f32_e32 v52, v27, v33
	v_add_f32_e32 v52, v52, v29
	;; [unrolled: 1-line block ×13, first 2 shown]
	v_sub_f32_e32 v32, v32, v34
	v_add_f32_e32 v52, v25, v52
	v_mul_f32_e32 v34, 0xbeb8f4ab, v32
	v_mul_f32_e32 v53, 0xbf2c7751, v32
	;; [unrolled: 1-line block ×8, first 2 shown]
	v_add_f32_e32 v52, v31, v52
	v_add_f32_e32 v33, v33, v35
	s_mov_b32 s6, 0x3f6eb680
	s_mov_b32 s4, 0x3f3d2fb0
	;; [unrolled: 1-line block ×8, first 2 shown]
	v_mov_b32_e32 v65, v32
	v_sub_f32_e32 v28, v28, v30
	v_add_f32_e32 v52, v35, v52
	v_fma_f32 v35, v33, s6, -v34
	v_fmac_f32_e32 v34, 0x3f6eb680, v33
	v_fma_f32 v54, v33, s4, -v53
	v_fmac_f32_e32 v53, 0x3f3d2fb0, v33
	;; [unrolled: 2-line block ×7, first 2 shown]
	v_fmac_f32_e32 v65, 0xbf7ba420, v33
	v_fma_f32 v32, v33, s11, -v32
	v_add_f32_e32 v29, v29, v31
	v_mul_f32_e32 v30, 0xbf2c7751, v28
	v_add_f32_e32 v34, v27, v34
	v_add_f32_e32 v35, v27, v35
	v_add_f32_e32 v53, v27, v53
	v_add_f32_e32 v54, v27, v54
	v_add_f32_e32 v55, v27, v55
	v_add_f32_e32 v56, v27, v56
	v_add_f32_e32 v57, v27, v57
	v_add_f32_e32 v58, v27, v58
	v_add_f32_e32 v59, v27, v59
	v_add_f32_e32 v60, v27, v60
	v_add_f32_e32 v61, v27, v61
	v_add_f32_e32 v62, v27, v62
	v_add_f32_e32 v63, v27, v63
	v_add_f32_e32 v64, v27, v64
	v_add_f32_e32 v65, v27, v65
	v_add_f32_e32 v27, v27, v32
	v_fma_f32 v31, v29, s4, -v30
	v_fmac_f32_e32 v30, 0x3f3d2fb0, v29
	v_mul_f32_e32 v32, 0xbf7ee86f, v28
	v_add_f32_e32 v30, v34, v30
	v_fma_f32 v33, v29, s0, -v32
	v_fmac_f32_e32 v32, 0x3dbcf732, v29
	v_mul_f32_e32 v34, 0xbf4c4adb, v28
	v_add_f32_e32 v31, v35, v31
	v_add_f32_e32 v32, v53, v32
	v_fma_f32 v35, v29, s7, -v34
	v_fmac_f32_e32 v34, 0xbf1a4643, v29
	v_mul_f32_e32 v53, 0xbe3c28d5, v28
	v_add_f32_e32 v33, v54, v33
	;; [unrolled: 5-line block ×4, first 2 shown]
	v_add_f32_e32 v55, v59, v55
	v_fma_f32 v58, v29, s5, -v57
	v_fmac_f32_e32 v57, 0xbe8c1d8e, v29
	v_mul_f32_e32 v59, 0x3f65296c, v28
	v_mul_f32_e32 v28, 0x3eb8f4ab, v28
	v_sub_f32_e32 v22, v22, v24
	v_add_f32_e32 v57, v61, v57
	v_mov_b32_e32 v61, v28
	v_fma_f32 v28, v29, s6, -v28
	v_add_f32_e32 v23, v23, v25
	v_mul_f32_e32 v24, 0xbf65296c, v22
	v_add_f32_e32 v27, v27, v28
	v_fma_f32 v25, v23, s1, -v24
	v_fmac_f32_e32 v24, 0x3ee437d1, v23
	v_mul_f32_e32 v28, 0xbf4c4adb, v22
	v_add_f32_e32 v56, v60, v56
	v_fma_f32 v60, v29, s1, -v59
	v_fmac_f32_e32 v59, 0x3ee437d1, v29
	v_fmac_f32_e32 v61, 0x3f6eb680, v29
	v_add_f32_e32 v24, v30, v24
	v_fma_f32 v29, v23, s7, -v28
	v_fmac_f32_e32 v28, 0xbf1a4643, v23
	v_mul_f32_e32 v30, 0x3e3c28d5, v22
	v_add_f32_e32 v25, v31, v25
	v_add_f32_e32 v28, v32, v28
	v_fma_f32 v31, v23, s11, -v30
	v_fmac_f32_e32 v30, 0xbf7ba420, v23
	v_mul_f32_e32 v32, 0x3f763a35, v22
	v_add_f32_e32 v29, v33, v29
	v_add_f32_e32 v30, v34, v30
	v_fma_f32 v33, v23, s5, -v32
	v_fmac_f32_e32 v32, 0xbe8c1d8e, v23
	v_mul_f32_e32 v34, 0x3f2c7751, v22
	v_add_f32_e32 v31, v35, v31
	v_add_f32_e32 v32, v53, v32
	v_fma_f32 v35, v23, s4, -v34
	v_fmac_f32_e32 v34, 0x3f3d2fb0, v23
	v_mul_f32_e32 v53, 0xbeb8f4ab, v22
	v_add_f32_e32 v33, v54, v33
	v_add_f32_e32 v34, v55, v34
	v_fma_f32 v54, v23, s6, -v53
	v_fmac_f32_e32 v53, 0x3f6eb680, v23
	v_mul_f32_e32 v55, 0xbf7ee86f, v22
	v_mul_f32_e32 v22, 0xbf06c442, v22
	v_sub_f32_e32 v18, v18, v20
	v_add_f32_e32 v53, v57, v53
	v_mov_b32_e32 v57, v22
	v_add_f32_e32 v19, v19, v21
	v_mul_f32_e32 v20, 0xbf7ee86f, v18
	v_add_f32_e32 v35, v56, v35
	v_fma_f32 v56, v23, s0, -v55
	v_fmac_f32_e32 v55, 0x3dbcf732, v23
	v_fmac_f32_e32 v57, 0xbf59a7d5, v23
	v_fma_f32 v22, v23, s10, -v22
	v_fma_f32 v21, v19, s0, -v20
	v_fmac_f32_e32 v20, 0x3dbcf732, v19
	v_mul_f32_e32 v23, 0xbe3c28d5, v18
	v_add_f32_e32 v20, v24, v20
	v_add_f32_e32 v21, v25, v21
	v_fma_f32 v24, v19, s11, -v23
	v_fmac_f32_e32 v23, 0xbf7ba420, v19
	v_mul_f32_e32 v25, 0x3f763a35, v18
	v_add_f32_e32 v22, v27, v22
	v_add_f32_e32 v23, v28, v23
	v_fma_f32 v27, v19, s5, -v25
	v_fmac_f32_e32 v25, 0xbe8c1d8e, v19
	v_mul_f32_e32 v28, 0x3eb8f4ab, v18
	v_add_f32_e32 v24, v29, v24
	v_add_f32_e32 v25, v30, v25
	v_fma_f32 v29, v19, s6, -v28
	v_fmac_f32_e32 v28, 0x3f6eb680, v19
	v_mul_f32_e32 v30, 0xbf65296c, v18
	v_add_f32_e32 v27, v31, v27
	v_add_f32_e32 v28, v32, v28
	v_fma_f32 v31, v19, s1, -v30
	v_fmac_f32_e32 v30, 0x3ee437d1, v19
	v_mul_f32_e32 v32, 0xbf06c442, v18
	v_add_f32_e32 v29, v33, v29
	v_add_f32_e32 v30, v34, v30
	v_fma_f32 v33, v19, s10, -v32
	v_fmac_f32_e32 v32, 0xbf59a7d5, v19
	v_mul_f32_e32 v34, 0x3f4c4adb, v18
	v_mul_f32_e32 v18, 0x3f2c7751, v18
	v_sub_f32_e32 v14, v14, v16
	v_add_f32_e32 v32, v53, v32
	v_mov_b32_e32 v53, v18
	v_add_f32_e32 v15, v15, v17
	v_mul_f32_e32 v16, 0xbf763a35, v14
	v_add_f32_e32 v31, v35, v31
	v_fma_f32 v35, v19, s7, -v34
	v_fmac_f32_e32 v34, 0xbf1a4643, v19
	v_fmac_f32_e32 v53, 0x3f3d2fb0, v19
	v_fma_f32 v18, v19, s4, -v18
	v_fma_f32 v17, v15, s5, -v16
	v_fmac_f32_e32 v16, 0xbe8c1d8e, v15
	v_mul_f32_e32 v19, 0x3f06c442, v14
	v_add_f32_e32 v16, v20, v16
	;; [unrolled: 39-line block ×5, first 2 shown]
	v_add_f32_e32 v5, v5, v9
	v_fma_f32 v8, v3, s6, -v7
	v_fmac_f32_e32 v7, 0x3f6eb680, v3
	v_mul_f32_e32 v9, 0xbf06c442, v2
	v_add_f32_e32 v6, v6, v10
	v_add_f32_e32 v7, v7, v11
	v_fma_f32 v10, v3, s10, -v9
	v_fmac_f32_e32 v9, 0xbf59a7d5, v3
	v_mul_f32_e32 v11, 0x3f2c7751, v2
	v_add_f32_e32 v58, v62, v58
	v_add_f32_e32 v59, v63, v59
	v_add_f32_e32 v60, v64, v60
	v_add_f32_e32 v61, v65, v61
	v_add_f32_e32 v8, v8, v12
	v_add_f32_e32 v9, v9, v13
	v_fma_f32 v12, v3, s4, -v11
	v_fmac_f32_e32 v11, 0x3f3d2fb0, v3
	v_mul_f32_e32 v13, 0xbf4c4adb, v2
	v_add_f32_e32 v54, v58, v54
	v_add_f32_e32 v55, v59, v55
	v_add_f32_e32 v56, v60, v56
	v_add_f32_e32 v57, v61, v57
	;; [unrolled: 9-line block ×3, first 2 shown]
	v_add_f32_e32 v12, v12, v16
	v_add_f32_e32 v13, v13, v17
	v_fma_f32 v16, v3, s1, -v15
	v_fmac_f32_e32 v15, 0x3ee437d1, v3
	v_mul_f32_e32 v17, 0xbf763a35, v2
	v_mul_f32_e32 v2, 0x3f7ee86f, v2
	v_add_f32_e32 v29, v33, v29
	v_add_f32_e32 v30, v34, v30
	;; [unrolled: 1-line block ×5, first 2 shown]
	v_mov_b32_e32 v19, v2
	v_add_f32_e32 v24, v29, v24
	v_add_f32_e32 v25, v30, v25
	;; [unrolled: 1-line block ×5, first 2 shown]
	v_fma_f32 v18, v3, s5, -v17
	v_fmac_f32_e32 v17, 0xbe8c1d8e, v3
	v_fmac_f32_e32 v19, 0x3dbcf732, v3
	v_fma_f32 v2, v3, s0, -v2
	v_lshlrev_b32_e32 v3, 6, v46
	v_add_f32_e32 v20, v20, v24
	v_add_f32_e32 v21, v21, v25
	;; [unrolled: 1-line block ×4, first 2 shown]
	v_add3_u32 v3, v51, v3, v47
	v_add_f32_e32 v16, v16, v20
	v_add_f32_e32 v17, v17, v21
	;; [unrolled: 1-line block ×5, first 2 shown]
	ds_write2_b32 v3, v52, v4 offset1:1
	ds_write2_b32 v3, v7, v9 offset0:2 offset1:3
	ds_write2_b32 v3, v11, v13 offset0:4 offset1:5
	;; [unrolled: 1-line block ×7, first 2 shown]
	ds_write_b32 v3, v5 offset:64
.LBB0_14:
	s_or_b64 exec, exec, s[2:3]
	v_add_u32_e32 v12, 34, v46
	s_movk_i32 s0, 0xf1
	v_mul_u32_u24_e32 v2, 3, v46
	v_mul_lo_u16_sdwa v7, v12, s0 dst_sel:DWORD dst_unused:UNUSED_PAD src0_sel:BYTE_0 src1_sel:DWORD
	v_lshlrev_b32_e32 v6, 3, v2
	v_lshrrev_b16_e32 v7, 12, v7
	s_waitcnt lgkmcnt(0)
	s_barrier
	global_load_dwordx4 v[2:5], v6, s[8:9]
	global_load_dwordx2 v[10:11], v6, s[8:9] offset:16
	v_mul_lo_u16_e32 v7, 17, v7
	v_mov_b32_e32 v6, 3
	v_sub_u16_e32 v25, v12, v7
	v_mul_u32_u24_sdwa v6, v25, v6 dst_sel:DWORD dst_unused:UNUSED_PAD src0_sel:BYTE_0 src1_sel:DWORD
	v_lshlrev_b32_e32 v15, 3, v6
	global_load_dwordx4 v[6:9], v15, s[8:9]
	global_load_dwordx2 v[13:14], v15, s[8:9] offset:16
	ds_read2_b32 v[15:16], v48 offset0:51 offset1:68
	ds_read2_b32 v[17:18], v48 offset0:85 offset1:102
	;; [unrolled: 1-line block ×5, first 2 shown]
	ds_read_b32 v27, v26
	ds_read_b32 v28, v48 offset:748
	s_waitcnt vmcnt(0) lgkmcnt(0)
	s_barrier
	v_mul_f32_e32 v29, v15, v3
	v_mul_f32_e32 v30, v44, v3
	;; [unrolled: 1-line block ×12, first 2 shown]
	v_fmac_f32_e32 v3, v16, v2
	v_fmac_f32_e32 v5, v23, v4
	;; [unrolled: 1-line block ×3, first 2 shown]
	v_fma_f32 v29, v44, v2, -v29
	v_fmac_f32_e32 v30, v15, v2
	v_fma_f32 v15, v39, v4, -v31
	v_fmac_f32_e32 v32, v18, v4
	v_fma_f32 v18, v42, v10, -v33
	v_sub_f32_e32 v5, v21, v5
	v_sub_f32_e32 v11, v3, v11
	v_fmac_f32_e32 v34, v19, v10
	v_fma_f32 v19, v45, v2, -v35
	v_fma_f32 v2, v40, v4, -v51
	;; [unrolled: 1-line block ×3, first 2 shown]
	v_sub_f32_e32 v10, v50, v15
	v_sub_f32_e32 v15, v27, v32
	;; [unrolled: 1-line block ×3, first 2 shown]
	v_fma_f32 v21, v21, 2.0, -v5
	v_fma_f32 v3, v3, 2.0, -v11
	v_sub_f32_e32 v18, v30, v34
	v_sub_f32_e32 v2, v36, v2
	;; [unrolled: 1-line block ×3, first 2 shown]
	v_fma_f32 v20, v50, 2.0, -v10
	v_fma_f32 v23, v27, 2.0, -v15
	;; [unrolled: 1-line block ×3, first 2 shown]
	v_sub_f32_e32 v31, v21, v3
	v_mul_f32_e32 v3, v17, v7
	v_mul_f32_e32 v7, v38, v7
	;; [unrolled: 1-line block ×6, first 2 shown]
	v_fma_f32 v29, v30, 2.0, -v18
	v_sub_f32_e32 v18, v10, v18
	v_fma_f32 v30, v36, 2.0, -v2
	v_fma_f32 v19, v19, 2.0, -v4
	v_sub_f32_e32 v27, v20, v27
	v_fma_f32 v3, v38, v6, -v3
	v_fmac_f32_e32 v7, v17, v6
	v_fma_f32 v6, v41, v8, -v32
	v_fmac_f32_e32 v9, v24, v8
	;; [unrolled: 2-line block ×3, first 2 shown]
	v_sub_f32_e32 v11, v2, v11
	v_add_f32_e32 v17, v5, v4
	v_fma_f32 v10, v10, 2.0, -v18
	v_sub_f32_e32 v19, v30, v19
	v_fma_f32 v20, v20, 2.0, -v27
	v_fma_f32 v2, v2, 2.0, -v11
	;; [unrolled: 1-line block ×3, first 2 shown]
	v_sub_f32_e32 v4, v37, v6
	v_sub_f32_e32 v5, v22, v9
	;; [unrolled: 1-line block ×4, first 2 shown]
	v_fma_f32 v30, v30, 2.0, -v19
	v_fma_f32 v6, v37, 2.0, -v4
	;; [unrolled: 1-line block ×5, first 2 shown]
	ds_write2_b32 v48, v20, v10 offset1:17
	ds_write2_b32 v48, v27, v18 offset0:34 offset1:51
	ds_write2_b32 v48, v30, v2 offset0:68 offset1:85
	;; [unrolled: 1-line block ×3, first 2 shown]
	v_mov_b32_e32 v2, 2
	v_sub_f32_e32 v3, v6, v3
	v_sub_f32_e32 v22, v9, v7
	;; [unrolled: 1-line block ×3, first 2 shown]
	v_lshlrev_b32_sdwa v2, v2, v25 dst_sel:DWORD dst_unused:UNUSED_PAD src0_sel:DWORD src1_sel:BYTE_0
	v_fma_f32 v6, v6, 2.0, -v3
	v_add_f32_e32 v32, v5, v8
	v_fma_f32 v4, v4, 2.0, -v7
	v_add3_u32 v18, 0, v2, v47
	v_fma_f32 v28, v9, 2.0, -v22
	v_fma_f32 v33, v5, 2.0, -v32
	ds_write2_b32 v18, v6, v4 offset0:136 offset1:153
	ds_write2_b32 v18, v3, v7 offset0:170 offset1:187
	s_waitcnt lgkmcnt(0)
	s_barrier
	ds_read2_b32 v[4:5], v48 offset0:51 offset1:68
	ds_read2_b32 v[2:3], v48 offset0:119 offset1:136
	;; [unrolled: 1-line block ×5, first 2 shown]
	ds_read_b32 v13, v26
	ds_read_b32 v14, v48 offset:748
	v_add_f32_e32 v16, v15, v16
	v_sub_f32_e32 v29, v23, v29
	v_fma_f32 v15, v15, 2.0, -v16
	v_fma_f32 v23, v23, 2.0, -v29
	;; [unrolled: 1-line block ×3, first 2 shown]
	s_waitcnt lgkmcnt(0)
	s_barrier
	ds_write2_b32 v48, v23, v15 offset1:17
	ds_write2_b32 v48, v29, v16 offset0:34 offset1:51
	ds_write2_b32 v48, v21, v24 offset0:68 offset1:85
	;; [unrolled: 1-line block ×5, first 2 shown]
	s_waitcnt lgkmcnt(0)
	s_barrier
	s_and_saveexec_b64 s[0:1], vcc
	s_cbranch_execz .LBB0_16
; %bb.15:
	v_add_u32_e32 v43, 51, v46
	v_lshlrev_b32_e32 v23, 1, v43
	v_mov_b32_e32 v24, 0
	v_lshlrev_b64 v[15:16], 3, v[23:24]
	v_lshlrev_b32_e32 v23, 1, v12
	v_mov_b32_e32 v25, s9
	v_add_co_u32_e32 v15, vcc, s8, v15
	v_lshlrev_b64 v[19:20], 3, v[23:24]
	v_add_u32_e32 v44, 17, v46
	v_addc_co_u32_e32 v16, vcc, v25, v16, vcc
	v_lshlrev_b32_e32 v23, 1, v44
	v_add_co_u32_e32 v19, vcc, s8, v19
	v_lshlrev_b64 v[27:28], 3, v[23:24]
	global_load_dwordx4 v[15:18], v[15:16], off offset:408
	v_addc_co_u32_e32 v20, vcc, v25, v20, vcc
	global_load_dwordx4 v[19:22], v[19:20], off offset:408
	v_add_co_u32_e32 v27, vcc, s8, v27
	v_addc_co_u32_e32 v28, vcc, v25, v28, vcc
	global_load_dwordx4 v[27:30], v[27:28], off offset:408
	v_lshlrev_b32_e32 v23, 1, v46
	v_lshlrev_b64 v[23:24], 3, v[23:24]
	s_mov_b32 s3, 0xf0f0f0f1
	v_add_co_u32_e32 v23, vcc, s8, v23
	v_addc_co_u32_e32 v24, vcc, v25, v24, vcc
	global_load_dwordx4 v[31:34], v[23:24], off offset:408
	ds_read2_b32 v[23:24], v48 offset0:51 offset1:68
	ds_read2_b32 v[35:36], v48 offset0:119 offset1:136
	ds_read2_b32 v[37:38], v48 offset0:85 offset1:102
	ds_read2_b32 v[39:40], v48 offset0:153 offset1:170
	ds_read2_b32 v[41:42], v48 offset0:17 offset1:34
	ds_read_b32 v25, v48 offset:748
	ds_read_b32 v45, v26
	s_movk_i32 s2, 0x88
	s_waitcnt vmcnt(3)
	v_mul_f32_e32 v26, v2, v16
	v_mul_f32_e32 v47, v14, v18
	s_waitcnt lgkmcnt(5)
	v_mul_f32_e32 v16, v35, v16
	s_waitcnt lgkmcnt(1)
	v_mul_f32_e32 v18, v25, v18
	v_fmac_f32_e32 v26, v35, v15
	v_fma_f32 v2, v2, v15, -v16
	v_fma_f32 v16, v14, v17, -v18
	s_waitcnt vmcnt(2)
	v_mul_f32_e32 v15, v40, v22
	v_mul_f32_e32 v18, v11, v20
	;; [unrolled: 1-line block ×3, first 2 shown]
	v_fmac_f32_e32 v47, v25, v17
	v_mul_f32_e32 v14, v38, v20
	v_add_f32_e32 v20, v2, v16
	v_fmac_f32_e32 v18, v19, v38
	v_fmac_f32_e32 v22, v21, v40
	v_add_f32_e32 v17, v26, v47
	v_sub_f32_e32 v25, v2, v16
	v_sub_f32_e32 v35, v26, v47
	v_add_f32_e32 v26, v23, v26
	v_add_f32_e32 v2, v4, v2
	v_fma_f32 v11, v11, v19, -v14
	v_fma_f32 v9, v9, v21, -v15
	s_waitcnt vmcnt(1)
	v_mul_f32_e32 v21, v39, v30
	v_fma_f32 v14, -0.5, v20, v4
	v_add_f32_e32 v4, v18, v22
	v_fma_f32 v15, -0.5, v17, v23
	v_add_f32_e32 v17, v26, v47
	v_fma_f32 v47, v8, v29, -v21
	v_fma_f32 v21, -0.5, v4, v42
	v_add_f32_e32 v16, v2, v16
	v_sub_f32_e32 v2, v11, v9
	v_add_f32_e32 v20, v11, v9
	v_add_f32_e32 v23, v18, v42
	;; [unrolled: 1-line block ×3, first 2 shown]
	v_mov_b32_e32 v26, v21
	v_sub_f32_e32 v38, v18, v22
	v_add_f32_e32 v23, v22, v23
	v_add_f32_e32 v22, v11, v9
	v_fmac_f32_e32 v21, 0xbf5db3d7, v2
	v_fmac_f32_e32 v26, 0x3f5db3d7, v2
	v_mul_f32_e32 v2, v10, v28
	v_mul_f32_e32 v11, v8, v30
	;; [unrolled: 1-line block ×3, first 2 shown]
	v_fmac_f32_e32 v2, v27, v37
	v_fmac_f32_e32 v11, v29, v39
	v_fma_f32 v40, v10, v27, -v19
	v_fma_f32 v20, -0.5, v20, v7
	v_add_f32_e32 v7, v2, v11
	v_fma_f32 v8, -0.5, v7, v41
	v_add_f32_e32 v7, v40, v47
	v_fma_f32 v7, -0.5, v7, v6
	v_sub_f32_e32 v27, v2, v11
	v_add_f32_e32 v2, v2, v41
	v_mov_b32_e32 v9, v7
	v_add_f32_e32 v28, v11, v2
	v_add_f32_e32 v2, v6, v40
	v_fmac_f32_e32 v9, 0xbf5db3d7, v27
	v_fmac_f32_e32 v7, 0x3f5db3d7, v27
	v_add_f32_e32 v27, v2, v47
	s_waitcnt vmcnt(0)
	v_mul_f32_e32 v2, v24, v32
	v_mul_f32_e32 v32, v5, v32
	v_fmac_f32_e32 v32, v31, v24
	v_mul_f32_e32 v24, v3, v34
	v_mov_b32_e32 v18, v14
	v_fma_f32 v11, v5, v31, -v2
	v_mul_f32_e32 v2, v36, v34
	v_fmac_f32_e32 v24, v33, v36
	v_mad_u64_u32 v[29:30], s[0:1], s12, v46, 0
	v_fmac_f32_e32 v14, 0xbf5db3d7, v35
	v_fmac_f32_e32 v18, 0x3f5db3d7, v35
	v_fma_f32 v35, v3, v33, -v2
	v_add_f32_e32 v2, v32, v24
	s_waitcnt lgkmcnt(0)
	v_fma_f32 v3, -0.5, v2, v45
	v_add_f32_e32 v2, v11, v35
	v_sub_f32_e32 v4, v40, v47
	v_mov_b32_e32 v10, v8
	v_sub_f32_e32 v6, v11, v35
	v_mov_b32_e32 v5, v3
	v_fma_f32 v2, -0.5, v2, v13
	v_fmac_f32_e32 v10, 0x3f5db3d7, v4
	v_fmac_f32_e32 v8, 0xbf5db3d7, v4
	;; [unrolled: 1-line block ×3, first 2 shown]
	v_sub_f32_e32 v31, v32, v24
	v_mov_b32_e32 v4, v2
	v_fmac_f32_e32 v3, 0xbf5db3d7, v6
	v_mov_b32_e32 v6, v30
	v_fmac_f32_e32 v4, 0xbf5db3d7, v31
	v_fmac_f32_e32 v2, 0x3f5db3d7, v31
	v_mad_u64_u32 v[30:31], s[0:1], s13, v46, v[6:7]
	v_add_f32_e32 v32, v32, v45
	v_add_f32_e32 v6, v13, v11
	;; [unrolled: 1-line block ×4, first 2 shown]
	v_mov_b32_e32 v6, s15
	v_add_co_u32_e32 v11, vcc, s14, v0
	v_add_u32_e32 v24, 0x44, v46
	v_addc_co_u32_e32 v13, vcc, v6, v1, vcc
	v_lshlrev_b64 v[0:1], 3, v[29:30]
	v_mad_u64_u32 v[29:30], s[0:1], s12, v24, 0
	v_add_co_u32_e32 v0, vcc, v11, v0
	v_mov_b32_e32 v6, v30
	v_mad_u64_u32 v[33:34], s[0:1], s13, v24, v[6:7]
	v_add_u32_e32 v24, 0x88, v46
	v_addc_co_u32_e32 v1, vcc, v13, v1, vcc
	v_mad_u64_u32 v[34:35], s[0:1], s12, v24, 0
	v_mov_b32_e32 v30, v33
	global_store_dwordx2 v[0:1], v[31:32], off
	v_lshlrev_b64 v[0:1], 3, v[29:30]
	v_mov_b32_e32 v6, v35
	v_add_co_u32_e32 v0, vcc, v11, v0
	v_addc_co_u32_e32 v1, vcc, v13, v1, vcc
	v_mad_u64_u32 v[29:30], s[0:1], s13, v24, v[6:7]
	global_store_dwordx2 v[0:1], v[2:3], off
	v_mad_u64_u32 v[2:3], s[0:1], s12, v44, 0
	v_mov_b32_e32 v35, v29
	v_add_u32_e32 v6, 0x55, v46
	v_mad_u64_u32 v[29:30], s[0:1], s13, v44, v[3:4]
	v_lshlrev_b64 v[0:1], 3, v[34:35]
	v_mad_u64_u32 v[30:31], s[0:1], s12, v6, 0
	v_add_co_u32_e32 v0, vcc, v11, v0
	v_addc_co_u32_e32 v1, vcc, v13, v1, vcc
	v_mov_b32_e32 v3, v29
	global_store_dwordx2 v[0:1], v[4:5], off
	v_lshlrev_b64 v[0:1], 3, v[2:3]
	v_mov_b32_e32 v2, v31
	v_mad_u64_u32 v[2:3], s[0:1], s13, v6, v[2:3]
	v_add_u32_e32 v4, 0x99, v46
	v_add_co_u32_e32 v0, vcc, v11, v0
	v_mov_b32_e32 v31, v2
	v_mad_u64_u32 v[2:3], s[0:1], s12, v4, 0
	v_addc_co_u32_e32 v1, vcc, v13, v1, vcc
	v_mad_u64_u32 v[3:4], s[0:1], s13, v4, v[3:4]
	global_store_dwordx2 v[0:1], v[27:28], off
	v_lshlrev_b64 v[0:1], 3, v[30:31]
	v_mul_hi_u32 v4, v12, s3
	v_add_co_u32_e32 v0, vcc, v11, v0
	v_addc_co_u32_e32 v1, vcc, v13, v1, vcc
	global_store_dwordx2 v[0:1], v[7:8], off
	v_lshlrev_b64 v[0:1], 3, v[2:3]
	v_lshrrev_b32_e32 v2, 6, v4
	v_mad_u32_u24 v6, v2, s2, v12
	v_mad_u64_u32 v[2:3], s[0:1], s12, v6, 0
	v_add_u32_e32 v7, 0x44, v6
	v_add_co_u32_e32 v0, vcc, v11, v0
	v_mad_u64_u32 v[3:4], s[0:1], s13, v6, v[3:4]
	v_mad_u64_u32 v[4:5], s[0:1], s12, v7, 0
	v_addc_co_u32_e32 v1, vcc, v13, v1, vcc
	global_store_dwordx2 v[0:1], v[9:10], off
	v_lshlrev_b64 v[0:1], 3, v[2:3]
	v_mov_b32_e32 v2, v5
	v_mad_u64_u32 v[2:3], s[0:1], s13, v7, v[2:3]
	v_add_co_u32_e32 v0, vcc, v11, v0
	v_addc_co_u32_e32 v1, vcc, v13, v1, vcc
	v_mov_b32_e32 v5, v2
	global_store_dwordx2 v[0:1], v[22:23], off
	v_lshlrev_b64 v[0:1], 3, v[4:5]
	v_add_u32_e32 v4, 0x88, v6
	v_mad_u64_u32 v[2:3], s[0:1], s12, v4, 0
	v_mul_hi_u32 v5, v43, s3
	v_mov_b32_e32 v19, v15
	v_mad_u64_u32 v[3:4], s[0:1], s13, v4, v[3:4]
	v_lshrrev_b32_e32 v4, 6, v5
	v_mad_u32_u24 v6, v4, s2, v43
	v_mad_u64_u32 v[4:5], s[0:1], s12, v6, 0
	v_add_co_u32_e32 v0, vcc, v11, v0
	v_fmac_f32_e32 v15, 0x3f5db3d7, v25
	v_fmac_f32_e32 v19, 0xbf5db3d7, v25
	v_mov_b32_e32 v25, v20
	v_fmac_f32_e32 v20, 0x3f5db3d7, v38
	v_addc_co_u32_e32 v1, vcc, v13, v1, vcc
	global_store_dwordx2 v[0:1], v[20:21], off
	v_lshlrev_b64 v[0:1], 3, v[2:3]
	v_mov_b32_e32 v2, v5
	v_mad_u64_u32 v[2:3], s[0:1], s13, v6, v[2:3]
	v_add_co_u32_e32 v0, vcc, v11, v0
	v_fmac_f32_e32 v25, 0xbf5db3d7, v38
	v_addc_co_u32_e32 v1, vcc, v13, v1, vcc
	v_mov_b32_e32 v5, v2
	global_store_dwordx2 v[0:1], v[25:26], off
	v_lshlrev_b64 v[0:1], 3, v[4:5]
	v_add_u32_e32 v4, 0x44, v6
	v_mad_u64_u32 v[2:3], s[0:1], s12, v4, 0
	v_add_u32_e32 v6, 0x88, v6
	v_add_co_u32_e32 v0, vcc, v11, v0
	v_mad_u64_u32 v[3:4], s[0:1], s13, v4, v[3:4]
	v_mad_u64_u32 v[4:5], s[0:1], s12, v6, 0
	v_addc_co_u32_e32 v1, vcc, v13, v1, vcc
	global_store_dwordx2 v[0:1], v[16:17], off
	v_lshlrev_b64 v[0:1], 3, v[2:3]
	v_mov_b32_e32 v2, v5
	v_mad_u64_u32 v[2:3], s[0:1], s13, v6, v[2:3]
	v_add_co_u32_e32 v0, vcc, v11, v0
	v_addc_co_u32_e32 v1, vcc, v13, v1, vcc
	v_mov_b32_e32 v5, v2
	global_store_dwordx2 v[0:1], v[18:19], off
	v_lshlrev_b64 v[0:1], 3, v[4:5]
	v_add_co_u32_e32 v0, vcc, v11, v0
	v_addc_co_u32_e32 v1, vcc, v13, v1, vcc
	global_store_dwordx2 v[0:1], v[14:15], off
.LBB0_16:
	s_endpgm
	.section	.rodata,"a",@progbits
	.p2align	6, 0x0
	.amdhsa_kernel fft_rtc_fwd_len204_factors_17_4_3_wgs_119_tpt_17_halfLds_sp_ip_CI_sbrr_dirReg
		.amdhsa_group_segment_fixed_size 0
		.amdhsa_private_segment_fixed_size 0
		.amdhsa_kernarg_size 88
		.amdhsa_user_sgpr_count 6
		.amdhsa_user_sgpr_private_segment_buffer 1
		.amdhsa_user_sgpr_dispatch_ptr 0
		.amdhsa_user_sgpr_queue_ptr 0
		.amdhsa_user_sgpr_kernarg_segment_ptr 1
		.amdhsa_user_sgpr_dispatch_id 0
		.amdhsa_user_sgpr_flat_scratch_init 0
		.amdhsa_user_sgpr_private_segment_size 0
		.amdhsa_uses_dynamic_stack 0
		.amdhsa_system_sgpr_private_segment_wavefront_offset 0
		.amdhsa_system_sgpr_workgroup_id_x 1
		.amdhsa_system_sgpr_workgroup_id_y 0
		.amdhsa_system_sgpr_workgroup_id_z 0
		.amdhsa_system_sgpr_workgroup_info 0
		.amdhsa_system_vgpr_workitem_id 0
		.amdhsa_next_free_vgpr 83
		.amdhsa_next_free_sgpr 24
		.amdhsa_reserve_vcc 1
		.amdhsa_reserve_flat_scratch 0
		.amdhsa_float_round_mode_32 0
		.amdhsa_float_round_mode_16_64 0
		.amdhsa_float_denorm_mode_32 3
		.amdhsa_float_denorm_mode_16_64 3
		.amdhsa_dx10_clamp 1
		.amdhsa_ieee_mode 1
		.amdhsa_fp16_overflow 0
		.amdhsa_exception_fp_ieee_invalid_op 0
		.amdhsa_exception_fp_denorm_src 0
		.amdhsa_exception_fp_ieee_div_zero 0
		.amdhsa_exception_fp_ieee_overflow 0
		.amdhsa_exception_fp_ieee_underflow 0
		.amdhsa_exception_fp_ieee_inexact 0
		.amdhsa_exception_int_div_zero 0
	.end_amdhsa_kernel
	.text
.Lfunc_end0:
	.size	fft_rtc_fwd_len204_factors_17_4_3_wgs_119_tpt_17_halfLds_sp_ip_CI_sbrr_dirReg, .Lfunc_end0-fft_rtc_fwd_len204_factors_17_4_3_wgs_119_tpt_17_halfLds_sp_ip_CI_sbrr_dirReg
                                        ; -- End function
	.section	.AMDGPU.csdata,"",@progbits
; Kernel info:
; codeLenInByte = 9504
; NumSgprs: 28
; NumVgprs: 83
; ScratchSize: 0
; MemoryBound: 0
; FloatMode: 240
; IeeeMode: 1
; LDSByteSize: 0 bytes/workgroup (compile time only)
; SGPRBlocks: 3
; VGPRBlocks: 20
; NumSGPRsForWavesPerEU: 28
; NumVGPRsForWavesPerEU: 83
; Occupancy: 3
; WaveLimiterHint : 1
; COMPUTE_PGM_RSRC2:SCRATCH_EN: 0
; COMPUTE_PGM_RSRC2:USER_SGPR: 6
; COMPUTE_PGM_RSRC2:TRAP_HANDLER: 0
; COMPUTE_PGM_RSRC2:TGID_X_EN: 1
; COMPUTE_PGM_RSRC2:TGID_Y_EN: 0
; COMPUTE_PGM_RSRC2:TGID_Z_EN: 0
; COMPUTE_PGM_RSRC2:TIDIG_COMP_CNT: 0
	.type	__hip_cuid_ea45fdbb5b72bd21,@object ; @__hip_cuid_ea45fdbb5b72bd21
	.section	.bss,"aw",@nobits
	.globl	__hip_cuid_ea45fdbb5b72bd21
__hip_cuid_ea45fdbb5b72bd21:
	.byte	0                               ; 0x0
	.size	__hip_cuid_ea45fdbb5b72bd21, 1

	.ident	"AMD clang version 19.0.0git (https://github.com/RadeonOpenCompute/llvm-project roc-6.4.0 25133 c7fe45cf4b819c5991fe208aaa96edf142730f1d)"
	.section	".note.GNU-stack","",@progbits
	.addrsig
	.addrsig_sym __hip_cuid_ea45fdbb5b72bd21
	.amdgpu_metadata
---
amdhsa.kernels:
  - .args:
      - .actual_access:  read_only
        .address_space:  global
        .offset:         0
        .size:           8
        .value_kind:     global_buffer
      - .offset:         8
        .size:           8
        .value_kind:     by_value
      - .actual_access:  read_only
        .address_space:  global
        .offset:         16
        .size:           8
        .value_kind:     global_buffer
      - .actual_access:  read_only
        .address_space:  global
        .offset:         24
        .size:           8
        .value_kind:     global_buffer
      - .offset:         32
        .size:           8
        .value_kind:     by_value
      - .actual_access:  read_only
        .address_space:  global
        .offset:         40
        .size:           8
        .value_kind:     global_buffer
      - .actual_access:  read_only
        .address_space:  global
        .offset:         48
        .size:           8
        .value_kind:     global_buffer
      - .offset:         56
        .size:           4
        .value_kind:     by_value
      - .actual_access:  read_only
        .address_space:  global
        .offset:         64
        .size:           8
        .value_kind:     global_buffer
      - .actual_access:  read_only
        .address_space:  global
        .offset:         72
        .size:           8
        .value_kind:     global_buffer
      - .address_space:  global
        .offset:         80
        .size:           8
        .value_kind:     global_buffer
    .group_segment_fixed_size: 0
    .kernarg_segment_align: 8
    .kernarg_segment_size: 88
    .language:       OpenCL C
    .language_version:
      - 2
      - 0
    .max_flat_workgroup_size: 119
    .name:           fft_rtc_fwd_len204_factors_17_4_3_wgs_119_tpt_17_halfLds_sp_ip_CI_sbrr_dirReg
    .private_segment_fixed_size: 0
    .sgpr_count:     28
    .sgpr_spill_count: 0
    .symbol:         fft_rtc_fwd_len204_factors_17_4_3_wgs_119_tpt_17_halfLds_sp_ip_CI_sbrr_dirReg.kd
    .uniform_work_group_size: 1
    .uses_dynamic_stack: false
    .vgpr_count:     83
    .vgpr_spill_count: 0
    .wavefront_size: 64
amdhsa.target:   amdgcn-amd-amdhsa--gfx906
amdhsa.version:
  - 1
  - 2
...

	.end_amdgpu_metadata
